;; amdgpu-corpus repo=ROCm/rocFFT kind=compiled arch=gfx950 opt=O3
	.text
	.amdgcn_target "amdgcn-amd-amdhsa--gfx950"
	.amdhsa_code_object_version 6
	.protected	fft_rtc_fwd_len1750_factors_2_5_5_7_5_wgs_175_tpt_175_halfLds_sp_op_CI_CI_unitstride_sbrr_dirReg ; -- Begin function fft_rtc_fwd_len1750_factors_2_5_5_7_5_wgs_175_tpt_175_halfLds_sp_op_CI_CI_unitstride_sbrr_dirReg
	.globl	fft_rtc_fwd_len1750_factors_2_5_5_7_5_wgs_175_tpt_175_halfLds_sp_op_CI_CI_unitstride_sbrr_dirReg
	.p2align	8
	.type	fft_rtc_fwd_len1750_factors_2_5_5_7_5_wgs_175_tpt_175_halfLds_sp_op_CI_CI_unitstride_sbrr_dirReg,@function
fft_rtc_fwd_len1750_factors_2_5_5_7_5_wgs_175_tpt_175_halfLds_sp_op_CI_CI_unitstride_sbrr_dirReg: ; @fft_rtc_fwd_len1750_factors_2_5_5_7_5_wgs_175_tpt_175_halfLds_sp_op_CI_CI_unitstride_sbrr_dirReg
; %bb.0:
	s_load_dwordx4 s[4:7], s[0:1], 0x58
	s_load_dwordx4 s[8:11], s[0:1], 0x0
	;; [unrolled: 1-line block ×3, first 2 shown]
	v_mul_u32_u24_e32 v1, 0x177, v0
	v_add_u32_sdwa v10, s2, v1 dst_sel:DWORD dst_unused:UNUSED_PAD src0_sel:DWORD src1_sel:WORD_1
	v_mov_b32_e32 v8, 0
	s_waitcnt lgkmcnt(0)
	v_cmp_lt_u64_e64 s[2:3], s[10:11], 2
	v_mov_b32_e32 v11, v8
	s_and_b64 vcc, exec, s[2:3]
	v_mov_b64_e32 v[6:7], 0
	s_cbranch_vccnz .LBB0_8
; %bb.1:
	s_load_dwordx2 s[2:3], s[0:1], 0x10
	s_add_u32 s16, s14, 8
	s_addc_u32 s17, s15, 0
	s_add_u32 s18, s12, 8
	s_addc_u32 s19, s13, 0
	s_waitcnt lgkmcnt(0)
	s_add_u32 s20, s2, 8
	v_mov_b64_e32 v[6:7], 0
	s_addc_u32 s21, s3, 0
	s_mov_b64 s[22:23], 1
	v_mov_b64_e32 v[2:3], v[6:7]
.LBB0_2:                                ; =>This Inner Loop Header: Depth=1
	s_load_dwordx2 s[24:25], s[20:21], 0x0
                                        ; implicit-def: $vgpr4_vgpr5
	s_waitcnt lgkmcnt(0)
	v_or_b32_e32 v9, s25, v11
	v_cmp_ne_u64_e32 vcc, 0, v[8:9]
	s_and_saveexec_b64 s[2:3], vcc
	s_xor_b64 s[26:27], exec, s[2:3]
	s_cbranch_execz .LBB0_4
; %bb.3:                                ;   in Loop: Header=BB0_2 Depth=1
	v_cvt_f32_u32_e32 v1, s24
	v_cvt_f32_u32_e32 v4, s25
	s_sub_u32 s2, 0, s24
	s_subb_u32 s3, 0, s25
	v_fmac_f32_e32 v1, 0x4f800000, v4
	v_rcp_f32_e32 v1, v1
	s_nop 0
	v_mul_f32_e32 v1, 0x5f7ffffc, v1
	v_mul_f32_e32 v4, 0x2f800000, v1
	v_trunc_f32_e32 v4, v4
	v_fmac_f32_e32 v1, 0xcf800000, v4
	v_cvt_u32_f32_e32 v9, v4
	v_cvt_u32_f32_e32 v1, v1
	v_mul_lo_u32 v4, s2, v9
	v_mul_hi_u32 v12, s2, v1
	v_mul_lo_u32 v5, s3, v1
	v_add_u32_e32 v12, v12, v4
	v_mul_lo_u32 v14, s2, v1
	v_add_u32_e32 v15, v12, v5
	v_mul_hi_u32 v4, v1, v14
	v_mul_hi_u32 v13, v1, v15
	v_mul_lo_u32 v12, v1, v15
	v_mov_b32_e32 v5, v8
	v_lshl_add_u64 v[4:5], v[4:5], 0, v[12:13]
	v_mul_hi_u32 v13, v9, v14
	v_mul_lo_u32 v14, v9, v14
	v_add_co_u32_e32 v4, vcc, v4, v14
	v_mul_hi_u32 v12, v9, v15
	s_nop 0
	v_addc_co_u32_e32 v4, vcc, v5, v13, vcc
	v_mov_b32_e32 v5, v8
	s_nop 0
	v_addc_co_u32_e32 v13, vcc, 0, v12, vcc
	v_mul_lo_u32 v12, v9, v15
	v_lshl_add_u64 v[4:5], v[4:5], 0, v[12:13]
	v_add_co_u32_e32 v1, vcc, v1, v4
	v_mul_lo_u32 v12, s2, v1
	s_nop 0
	v_addc_co_u32_e32 v9, vcc, v9, v5, vcc
	v_mul_lo_u32 v4, s2, v9
	v_mul_hi_u32 v5, s2, v1
	v_add_u32_e32 v4, v5, v4
	v_mul_lo_u32 v5, s3, v1
	v_add_u32_e32 v14, v4, v5
	v_mul_hi_u32 v16, v9, v12
	v_mul_lo_u32 v17, v9, v12
	v_mul_hi_u32 v5, v1, v14
	v_mul_lo_u32 v4, v1, v14
	v_mul_hi_u32 v12, v1, v12
	v_mov_b32_e32 v13, v8
	v_lshl_add_u64 v[4:5], v[12:13], 0, v[4:5]
	v_add_co_u32_e32 v4, vcc, v4, v17
	v_mul_hi_u32 v15, v9, v14
	s_nop 0
	v_addc_co_u32_e32 v4, vcc, v5, v16, vcc
	v_mul_lo_u32 v12, v9, v14
	s_nop 0
	v_addc_co_u32_e32 v13, vcc, 0, v15, vcc
	v_mov_b32_e32 v5, v8
	v_lshl_add_u64 v[4:5], v[4:5], 0, v[12:13]
	v_add_co_u32_e32 v1, vcc, v1, v4
	v_mul_hi_u32 v12, v10, v1
	s_nop 0
	v_addc_co_u32_e32 v9, vcc, v9, v5, vcc
	v_mad_u64_u32 v[4:5], s[2:3], v10, v9, 0
	v_mov_b32_e32 v13, v8
	v_lshl_add_u64 v[4:5], v[12:13], 0, v[4:5]
	v_mad_u64_u32 v[14:15], s[2:3], v11, v1, 0
	v_add_co_u32_e32 v1, vcc, v4, v14
	v_mad_u64_u32 v[12:13], s[2:3], v11, v9, 0
	s_nop 0
	v_addc_co_u32_e32 v4, vcc, v5, v15, vcc
	v_mov_b32_e32 v5, v8
	s_nop 0
	v_addc_co_u32_e32 v13, vcc, 0, v13, vcc
	v_lshl_add_u64 v[4:5], v[4:5], 0, v[12:13]
	v_mul_lo_u32 v1, s25, v4
	v_mul_lo_u32 v9, s24, v5
	v_mad_u64_u32 v[12:13], s[2:3], s24, v4, 0
	v_add3_u32 v1, v13, v9, v1
	v_sub_u32_e32 v9, v11, v1
	v_mov_b32_e32 v13, s25
	v_sub_co_u32_e32 v16, vcc, v10, v12
	v_lshl_add_u64 v[14:15], v[4:5], 0, 1
	s_nop 0
	v_subb_co_u32_e64 v9, s[2:3], v9, v13, vcc
	v_subrev_co_u32_e64 v12, s[2:3], s24, v16
	v_subb_co_u32_e32 v1, vcc, v11, v1, vcc
	s_nop 0
	v_subbrev_co_u32_e64 v9, s[2:3], 0, v9, s[2:3]
	v_cmp_le_u32_e64 s[2:3], s25, v9
	v_cmp_le_u32_e32 vcc, s25, v1
	s_nop 0
	v_cndmask_b32_e64 v13, 0, -1, s[2:3]
	v_cmp_le_u32_e64 s[2:3], s24, v12
	s_nop 1
	v_cndmask_b32_e64 v12, 0, -1, s[2:3]
	v_cmp_eq_u32_e64 s[2:3], s25, v9
	s_nop 1
	v_cndmask_b32_e64 v9, v13, v12, s[2:3]
	v_lshl_add_u64 v[12:13], v[4:5], 0, 2
	v_cmp_ne_u32_e64 s[2:3], 0, v9
	s_nop 1
	v_cndmask_b32_e64 v9, v15, v13, s[2:3]
	v_cndmask_b32_e64 v13, 0, -1, vcc
	v_cmp_le_u32_e32 vcc, s24, v16
	s_nop 1
	v_cndmask_b32_e64 v15, 0, -1, vcc
	v_cmp_eq_u32_e32 vcc, s25, v1
	s_nop 1
	v_cndmask_b32_e32 v1, v13, v15, vcc
	v_cmp_ne_u32_e32 vcc, 0, v1
	v_cndmask_b32_e64 v1, v14, v12, s[2:3]
	s_nop 0
	v_cndmask_b32_e32 v5, v5, v9, vcc
	v_cndmask_b32_e32 v4, v4, v1, vcc
.LBB0_4:                                ;   in Loop: Header=BB0_2 Depth=1
	s_andn2_saveexec_b64 s[2:3], s[26:27]
	s_cbranch_execz .LBB0_6
; %bb.5:                                ;   in Loop: Header=BB0_2 Depth=1
	v_cvt_f32_u32_e32 v1, s24
	s_sub_i32 s26, 0, s24
	v_rcp_iflag_f32_e32 v1, v1
	s_nop 0
	v_mul_f32_e32 v1, 0x4f7ffffe, v1
	v_cvt_u32_f32_e32 v1, v1
	v_mul_lo_u32 v4, s26, v1
	v_mul_hi_u32 v4, v1, v4
	v_add_u32_e32 v1, v1, v4
	v_mul_hi_u32 v1, v10, v1
	v_mul_lo_u32 v4, v1, s24
	v_sub_u32_e32 v4, v10, v4
	v_add_u32_e32 v5, 1, v1
	v_subrev_u32_e32 v9, s24, v4
	v_cmp_le_u32_e32 vcc, s24, v4
	s_nop 1
	v_cndmask_b32_e32 v4, v4, v9, vcc
	v_cndmask_b32_e32 v1, v1, v5, vcc
	v_add_u32_e32 v5, 1, v1
	v_cmp_le_u32_e32 vcc, s24, v4
	s_nop 1
	v_cndmask_b32_e32 v4, v1, v5, vcc
	v_mov_b32_e32 v5, v8
.LBB0_6:                                ;   in Loop: Header=BB0_2 Depth=1
	s_or_b64 exec, exec, s[2:3]
	v_mad_u64_u32 v[12:13], s[2:3], v4, s24, 0
	s_load_dwordx2 s[2:3], s[18:19], 0x0
	v_mul_lo_u32 v1, v5, s24
	v_mul_lo_u32 v9, v4, s25
	s_load_dwordx2 s[24:25], s[16:17], 0x0
	s_add_u32 s22, s22, 1
	v_add3_u32 v1, v13, v9, v1
	v_sub_co_u32_e32 v9, vcc, v10, v12
	s_addc_u32 s23, s23, 0
	s_nop 0
	v_subb_co_u32_e32 v1, vcc, v11, v1, vcc
	s_add_u32 s16, s16, 8
	s_waitcnt lgkmcnt(0)
	v_mul_lo_u32 v10, s2, v1
	v_mul_lo_u32 v11, s3, v9
	v_mad_u64_u32 v[6:7], s[2:3], s2, v9, v[6:7]
	s_addc_u32 s17, s17, 0
	v_add3_u32 v7, v11, v7, v10
	v_mul_lo_u32 v1, s24, v1
	v_mul_lo_u32 v10, s25, v9
	v_mad_u64_u32 v[2:3], s[2:3], s24, v9, v[2:3]
	s_add_u32 s18, s18, 8
	v_add3_u32 v3, v10, v3, v1
	s_addc_u32 s19, s19, 0
	v_mov_b64_e32 v[10:11], s[10:11]
	s_add_u32 s20, s20, 8
	v_cmp_ge_u64_e32 vcc, s[22:23], v[10:11]
	s_addc_u32 s21, s21, 0
	s_cbranch_vccnz .LBB0_9
; %bb.7:                                ;   in Loop: Header=BB0_2 Depth=1
	v_mov_b64_e32 v[10:11], v[4:5]
	s_branch .LBB0_2
.LBB0_8:
	v_mov_b64_e32 v[2:3], v[6:7]
	v_mov_b64_e32 v[4:5], v[10:11]
.LBB0_9:
	s_load_dwordx2 s[18:19], s[0:1], 0x28
	s_lshl_b64 s[16:17], s[10:11], 3
	s_add_u32 s2, s14, s16
	s_addc_u32 s3, s15, s17
                                        ; implicit-def: $sgpr14_sgpr15
                                        ; implicit-def: $vgpr32
	s_waitcnt lgkmcnt(0)
	v_cmp_gt_u64_e64 s[0:1], s[18:19], v[4:5]
	v_cmp_le_u64_e32 vcc, s[18:19], v[4:5]
	s_and_saveexec_b64 s[10:11], vcc
	s_xor_b64 s[10:11], exec, s[10:11]
; %bb.10:
	s_mov_b32 s14, 0x1767dcf
	v_mul_hi_u32 v1, v0, s14
	v_mul_u32_u24_e32 v1, 0xaf, v1
	v_sub_u32_e32 v32, v0, v1
	s_mov_b64 s[14:15], 0
                                        ; implicit-def: $vgpr0
                                        ; implicit-def: $vgpr6_vgpr7
; %bb.11:
	s_or_saveexec_b64 s[10:11], s[10:11]
	v_mov_b64_e32 v[12:13], s[14:15]
	v_mov_b64_e32 v[14:15], s[14:15]
	;; [unrolled: 1-line block ×5, first 2 shown]
                                        ; implicit-def: $vgpr26
                                        ; implicit-def: $vgpr22
                                        ; implicit-def: $vgpr24
                                        ; implicit-def: $vgpr18
                                        ; implicit-def: $vgpr20
	s_xor_b64 exec, exec, s[10:11]
	s_cbranch_execz .LBB0_13
; %bb.12:
	s_add_u32 s12, s12, s16
	s_addc_u32 s13, s13, s17
	s_load_dwordx2 s[12:13], s[12:13], 0x0
	s_mov_b32 s14, 0x1767dcf
	s_waitcnt lgkmcnt(0)
	v_mul_lo_u32 v1, s13, v4
	v_mul_lo_u32 v10, s12, v5
	v_mad_u64_u32 v[8:9], s[12:13], s12, v4, 0
	v_add3_u32 v9, v9, v10, v1
	v_mul_hi_u32 v1, v0, s14
	v_mul_u32_u24_e32 v1, 0xaf, v1
	v_sub_u32_e32 v32, v0, v1
	v_lshl_add_u64 v[0:1], v[8:9], 3, s[4:5]
	v_lshl_add_u64 v[0:1], v[6:7], 3, v[0:1]
	v_lshlrev_b32_e32 v6, 3, v32
	v_mov_b32_e32 v7, 0
	v_lshl_add_u64 v[0:1], v[0:1], 0, v[6:7]
	s_movk_i32 s4, 0x1000
	v_add_co_u32_e32 v6, vcc, s4, v0
	s_movk_i32 s4, 0x2000
	s_nop 0
	v_addc_co_u32_e32 v7, vcc, 0, v1, vcc
	v_add_co_u32_e32 v28, vcc, s4, v0
	s_nop 1
	v_addc_co_u32_e32 v29, vcc, 0, v1, vcc
	global_load_dwordx2 v[20:21], v[28:29], off offset:208
	global_load_dwordx2 v[18:19], v[28:29], off offset:1608
	global_load_dwordx2 v[12:13], v[0:1], off
	global_load_dwordx2 v[14:15], v[0:1], off offset:1400
	global_load_dwordx2 v[10:11], v[0:1], off offset:2800
	;; [unrolled: 1-line block ×5, first 2 shown]
	v_add_co_u32_e32 v0, vcc, 0x3000, v0
	s_nop 1
	v_addc_co_u32_e32 v1, vcc, 0, v1, vcc
	global_load_dwordx2 v[22:23], v[28:29], off offset:3008
	global_load_dwordx2 v[24:25], v[0:1], off offset:312
.LBB0_13:
	s_or_b64 exec, exec, s[10:11]
	s_waitcnt vmcnt(3)
	v_sub_f32_e32 v27, v13, v27
	v_sub_f32_e32 v1, v12, v26
	v_fma_f32 v26, v13, 2.0, -v27
	v_sub_f32_e32 v13, v15, v21
	v_sub_f32_e32 v19, v11, v19
	s_waitcnt vmcnt(1)
	v_sub_f32_e32 v21, v9, v23
	v_fma_f32 v0, v12, 2.0, -v1
	v_sub_f32_e32 v7, v14, v20
	v_fma_f32 v12, v15, 2.0, -v13
	;; [unrolled: 2-line block ×4, first 2 shown]
	s_waitcnt vmcnt(0)
	v_sub_f32_e32 v9, v16, v24
	v_fma_f32 v6, v14, 2.0, -v7
	v_fma_f32 v14, v10, 2.0, -v15
	;; [unrolled: 1-line block ×4, first 2 shown]
	v_lshl_add_u32 v16, v32, 3, 0
	ds_write_b64 v16, v[0:1]
	v_lshlrev_b32_e32 v0, 2, v32
	v_sub_f32_e32 v23, v17, v25
	v_add_u32_e32 v33, 0xaf, v32
	v_sub_u32_e32 v34, v16, v0
	v_fma_f32 v22, v17, 2.0, -v23
	v_lshl_add_u32 v1, v33, 3, 0
	v_add_u32_e32 v17, 0xa00, v16
	v_add_u32_e32 v35, 0x500, v34
	;; [unrolled: 1-line block ×5, first 2 shown]
	s_load_dwordx2 s[2:3], s[2:3], 0x0
	ds_write_b64 v1, v[6:7]
	ds_write2_b64 v17, v[14:15], v[10:11] offset0:30 offset1:205
	ds_write_b64 v16, v[8:9] offset:5600
	s_waitcnt lgkmcnt(0)
	s_barrier
	ds_read2_b32 v[6:7], v34 offset1:175
	ds_read2_b32 v[24:25], v35 offset0:30 offset1:205
	ds_read2_b32 v[28:29], v48 offset0:60 offset1:235
	;; [unrolled: 1-line block ×4, first 2 shown]
	s_waitcnt lgkmcnt(0)
	s_barrier
	ds_write_b64 v16, v[26:27]
	ds_write_b64 v1, v[12:13]
	ds_write2_b64 v17, v[18:19], v[20:21] offset0:30 offset1:205
	ds_write_b64 v16, v[22:23] offset:5600
	v_and_b32_e32 v1, 1, v32
	v_lshlrev_b32_e32 v16, 5, v1
	s_waitcnt lgkmcnt(0)
	s_barrier
	global_load_dwordx4 v[8:11], v16, s[8:9]
	global_load_dwordx4 v[12:15], v16, s[8:9] offset:16
	v_and_b32_e32 v46, 1, v33
	v_lshlrev_b32_e32 v26, 5, v46
	global_load_dwordx4 v[16:19], v26, s[8:9]
	global_load_dwordx4 v[20:23], v26, s[8:9] offset:16
	ds_read2_b32 v[26:27], v35 offset0:30 offset1:205
	ds_read2_b32 v[38:39], v34 offset1:175
	ds_read2_b32 v[40:41], v48 offset0:60 offset1:235
	ds_read2_b32 v[42:43], v49 offset0:26 offset1:201
	;; [unrolled: 1-line block ×3, first 2 shown]
	s_waitcnt lgkmcnt(0)
	s_barrier
	s_movk_i32 s4, 0xcd
	s_movk_i32 s11, 0x4b
	s_mov_b32 s10, 0x3f737871
	v_cmp_gt_u32_e32 vcc, s11, v32
	s_waitcnt vmcnt(3)
	v_mul_f32_e32 v47, v26, v9
	v_mul_f32_e32 v9, v24, v9
	;; [unrolled: 1-line block ×4, first 2 shown]
	s_waitcnt vmcnt(2)
	v_mul_f32_e32 v52, v42, v13
	v_mul_f32_e32 v13, v30, v13
	;; [unrolled: 1-line block ×4, first 2 shown]
	s_waitcnt vmcnt(1)
	v_mul_f32_e32 v54, v27, v17
	v_fma_f32 v24, v24, v8, -v47
	v_fmac_f32_e32 v9, v26, v8
	v_fma_f32 v8, v28, v10, -v51
	v_fmac_f32_e32 v11, v40, v10
	v_fma_f32 v10, v30, v12, -v52
	v_mul_f32_e32 v17, v25, v17
	v_fmac_f32_e32 v13, v42, v12
	v_fma_f32 v12, v36, v14, -v53
	v_fmac_f32_e32 v15, v44, v14
	v_fma_f32 v14, v25, v16, -v54
	v_add_f32_e32 v25, v8, v10
	v_fmac_f32_e32 v17, v27, v16
	v_mul_f32_e32 v16, v41, v19
	v_fma_f32 v25, -0.5, v25, v6
	v_sub_f32_e32 v26, v9, v15
	v_fma_f32 v16, v29, v18, -v16
	v_mul_f32_e32 v19, v29, v19
	v_fmamk_f32 v27, v26, 0x3f737871, v25
	v_sub_f32_e32 v28, v11, v13
	v_sub_f32_e32 v29, v24, v8
	;; [unrolled: 1-line block ×3, first 2 shown]
	v_fmac_f32_e32 v25, 0xbf737871, v26
	v_fmac_f32_e32 v19, v41, v18
	s_waitcnt vmcnt(0)
	v_mul_f32_e32 v18, v43, v21
	v_mul_f32_e32 v21, v31, v21
	v_fmac_f32_e32 v27, 0x3f167918, v28
	v_add_f32_e32 v29, v29, v30
	v_fmac_f32_e32 v25, 0xbf167918, v28
	v_fma_f32 v18, v31, v20, -v18
	v_fmac_f32_e32 v21, v43, v20
	v_mul_f32_e32 v20, v45, v23
	v_mul_f32_e32 v23, v37, v23
	v_fmac_f32_e32 v27, 0x3e9e377a, v29
	v_fmac_f32_e32 v25, 0x3e9e377a, v29
	v_add_f32_e32 v29, v24, v12
	v_fma_f32 v20, v37, v22, -v20
	v_fmac_f32_e32 v23, v45, v22
	v_add_f32_e32 v22, v6, v24
	v_fma_f32 v6, -0.5, v29, v6
	v_fmamk_f32 v29, v28, 0xbf737871, v6
	v_fmac_f32_e32 v6, 0x3f737871, v28
	v_fmac_f32_e32 v29, 0x3f167918, v26
	;; [unrolled: 1-line block ×3, first 2 shown]
	v_add_f32_e32 v26, v38, v9
	v_add_f32_e32 v26, v26, v11
	;; [unrolled: 1-line block ×8, first 2 shown]
	v_sub_f32_e32 v31, v10, v12
	v_fma_f32 v37, -0.5, v26, v38
	v_sub_f32_e32 v12, v24, v12
	v_sub_f32_e32 v30, v8, v24
	v_fmamk_f32 v40, v12, 0xbf737871, v37
	v_sub_f32_e32 v8, v8, v10
	v_sub_f32_e32 v10, v9, v11
	;; [unrolled: 1-line block ×3, first 2 shown]
	v_fmac_f32_e32 v37, 0x3f737871, v12
	v_fmac_f32_e32 v40, 0xbf167918, v8
	v_add_f32_e32 v10, v10, v24
	v_fmac_f32_e32 v37, 0x3f167918, v8
	v_fmac_f32_e32 v40, 0x3e9e377a, v10
	;; [unrolled: 1-line block ×3, first 2 shown]
	v_add_f32_e32 v10, v9, v15
	v_fma_f32 v10, -0.5, v10, v38
	v_fmamk_f32 v38, v8, 0x3f737871, v10
	v_sub_f32_e32 v9, v11, v9
	v_sub_f32_e32 v11, v13, v15
	v_fmac_f32_e32 v10, 0xbf737871, v8
	v_fmac_f32_e32 v38, 0xbf167918, v12
	v_add_f32_e32 v9, v9, v11
	v_fmac_f32_e32 v10, 0x3f167918, v12
	v_fmac_f32_e32 v38, 0x3e9e377a, v9
	v_fmac_f32_e32 v10, 0x3e9e377a, v9
	v_add_f32_e32 v9, v16, v18
	v_fma_f32 v9, -0.5, v9, v7
	v_sub_f32_e32 v11, v17, v23
	v_fmamk_f32 v12, v11, 0x3f737871, v9
	v_sub_f32_e32 v13, v19, v21
	v_sub_f32_e32 v15, v14, v16
	;; [unrolled: 1-line block ×3, first 2 shown]
	v_fmac_f32_e32 v9, 0xbf737871, v11
	v_fmac_f32_e32 v12, 0x3f167918, v13
	v_add_f32_e32 v15, v15, v24
	v_fmac_f32_e32 v9, 0xbf167918, v13
	v_fmac_f32_e32 v12, 0x3e9e377a, v15
	;; [unrolled: 1-line block ×3, first 2 shown]
	v_add_f32_e32 v15, v14, v20
	v_add_f32_e32 v8, v7, v14
	v_fmac_f32_e32 v7, -0.5, v15
	v_add_f32_e32 v8, v8, v16
	v_fmamk_f32 v15, v13, 0xbf737871, v7
	v_sub_f32_e32 v24, v16, v14
	v_sub_f32_e32 v26, v18, v20
	v_fmac_f32_e32 v7, 0x3f737871, v13
	v_add_f32_e32 v13, v19, v21
	v_add_f32_e32 v8, v8, v18
	v_fmac_f32_e32 v15, 0x3f167918, v11
	v_add_f32_e32 v24, v24, v26
	v_fmac_f32_e32 v7, 0xbf167918, v11
	v_fma_f32 v13, -0.5, v13, v39
	v_sub_f32_e32 v14, v14, v20
	v_add_f32_e32 v8, v8, v20
	v_fmac_f32_e32 v15, 0x3e9e377a, v24
	v_fmac_f32_e32 v7, 0x3e9e377a, v24
	v_fmamk_f32 v20, v14, 0xbf737871, v13
	v_sub_f32_e32 v16, v16, v18
	v_sub_f32_e32 v18, v17, v19
	;; [unrolled: 1-line block ×3, first 2 shown]
	v_fmac_f32_e32 v13, 0x3f737871, v14
	v_fmac_f32_e32 v20, 0xbf167918, v16
	v_add_f32_e32 v18, v18, v24
	v_fmac_f32_e32 v13, 0x3f167918, v16
	v_fmac_f32_e32 v20, 0x3e9e377a, v18
	;; [unrolled: 1-line block ×3, first 2 shown]
	v_add_f32_e32 v18, v17, v23
	v_add_f32_e32 v11, v39, v17
	v_fmac_f32_e32 v39, -0.5, v18
	v_fmamk_f32 v18, v16, 0x3f737871, v39
	v_fmac_f32_e32 v39, 0xbf737871, v16
	v_fmac_f32_e32 v18, 0xbf167918, v14
	;; [unrolled: 1-line block ×3, first 2 shown]
	v_lshrrev_b32_e32 v14, 1, v32
	v_mul_u32_u24_e32 v14, 10, v14
	v_add_f32_e32 v30, v30, v31
	v_or_b32_e32 v1, v14, v1
	v_fmac_f32_e32 v6, 0x3e9e377a, v30
	v_lshl_add_u32 v1, v1, 2, 0
	v_fmac_f32_e32 v29, 0x3e9e377a, v30
	ds_write2_b32 v1, v22, v27 offset1:2
	ds_write2_b32 v1, v29, v6 offset0:4 offset1:6
	ds_write_b32 v1, v25 offset:32
	v_lshrrev_b32_e32 v6, 1, v33
	v_mul_u32_u24_e32 v6, 10, v6
	v_add_f32_e32 v11, v11, v19
	v_sub_f32_e32 v17, v19, v17
	v_sub_f32_e32 v19, v21, v23
	v_or_b32_e32 v6, v6, v46
	v_add_f32_e32 v11, v11, v21
	v_add_f32_e32 v17, v17, v19
	v_lshl_add_u32 v6, v6, 2, 0
	v_add_f32_e32 v11, v11, v23
	v_fmac_f32_e32 v18, 0x3e9e377a, v17
	v_fmac_f32_e32 v39, 0x3e9e377a, v17
	ds_write2_b32 v6, v8, v12 offset1:2
	ds_write2_b32 v6, v15, v7 offset0:4 offset1:6
	ds_write_b32 v6, v9 offset:32
	s_waitcnt lgkmcnt(0)
	s_barrier
	ds_read2_b32 v[44:45], v34 offset1:175
	ds_read2_b32 v[24:25], v35 offset0:30 offset1:205
	ds_read2_b32 v[26:27], v48 offset0:60 offset1:235
	;; [unrolled: 1-line block ×4, first 2 shown]
	s_waitcnt lgkmcnt(0)
	s_barrier
	ds_write2_b32 v1, v36, v40 offset1:2
	ds_write2_b32 v1, v38, v10 offset0:4 offset1:6
	ds_write_b32 v1, v37 offset:32
	ds_write2_b32 v6, v11, v20 offset1:2
	ds_write2_b32 v6, v18, v39 offset0:4 offset1:6
	ds_write_b32 v6, v13 offset:32
	v_mul_lo_u16_sdwa v1, v32, s4 dst_sel:DWORD dst_unused:UNUSED_PAD src0_sel:BYTE_0 src1_sel:DWORD
	v_lshrrev_b16_e32 v1, 11, v1
	v_mul_lo_u16_e32 v6, 10, v1
	v_sub_u16_e32 v36, v32, v6
	v_mov_b32_e32 v6, 5
	v_lshlrev_b32_sdwa v10, v6, v36 dst_sel:DWORD dst_unused:UNUSED_PAD src0_sel:DWORD src1_sel:BYTE_0
	s_waitcnt lgkmcnt(0)
	s_barrier
	global_load_dwordx4 v[6:9], v10, s[8:9] offset:64
	global_load_dwordx4 v[12:15], v10, s[8:9] offset:80
	s_mov_b32 s4, 0xcccd
	v_mul_u32_u24_sdwa v10, v33, s4 dst_sel:DWORD dst_unused:UNUSED_PAD src0_sel:WORD_0 src1_sel:DWORD
	v_lshrrev_b32_e32 v52, 19, v10
	v_mul_lo_u16_e32 v10, 10, v52
	v_sub_u16_e32 v53, v33, v10
	v_lshlrev_b32_e32 v10, 5, v53
	global_load_dwordx4 v[16:19], v10, s[8:9] offset:80
	global_load_dwordx4 v[20:23], v10, s[8:9] offset:64
	ds_read2_b32 v[10:11], v34 offset1:175
	ds_read2_b32 v[46:47], v35 offset0:30 offset1:205
	ds_read2_b32 v[38:39], v48 offset0:60 offset1:235
	;; [unrolled: 1-line block ×4, first 2 shown]
	v_mov_b32_e32 v35, 2
	v_lshlrev_b32_sdwa v54, v35, v36 dst_sel:DWORD dst_unused:UNUSED_PAD src0_sel:DWORD src1_sel:BYTE_0
	s_mov_b32 s4, 0x3e9e377a
	s_mov_b32 s5, 0x3f167918
	;; [unrolled: 1-line block ×3, first 2 shown]
	v_mul_u32_u24_e32 v1, 0xc8, v1
	s_waitcnt lgkmcnt(0)
	s_barrier
	s_waitcnt vmcnt(3)
	v_mul_f32_e32 v35, v46, v7
	v_fma_f32 v40, v24, v6, -v35
	v_mul_f32_e32 v35, v24, v7
	v_fmac_f32_e32 v35, v46, v6
	v_mul_f32_e32 v6, v38, v9
	v_mul_f32_e32 v36, v26, v9
	v_fma_f32 v41, v26, v8, -v6
	v_fmac_f32_e32 v36, v38, v8
	s_waitcnt vmcnt(2)
	v_mul_f32_e32 v6, v48, v13
	v_add_f32_e32 v8, v44, v40
	v_fma_f32 v42, v28, v12, -v6
	v_mul_f32_e32 v6, v50, v15
	v_add_f32_e32 v8, v8, v41
	v_mul_f32_e32 v37, v28, v13
	v_fma_f32 v43, v30, v14, -v6
	v_mul_f32_e32 v38, v30, v15
	v_add_f32_e32 v8, v8, v42
	v_fmac_f32_e32 v37, v48, v12
	v_fmac_f32_e32 v38, v50, v14
	v_lshlrev_b32_e32 v48, 2, v53
	v_add_f32_e32 v53, v8, v43
	v_add_f32_e32 v8, v41, v42
	v_fma_f32 v55, -0.5, v8, v44
	v_sub_f32_e32 v8, v35, v38
	v_fmamk_f32 v56, v8, 0x3f737871, v55
	v_sub_f32_e32 v9, v36, v37
	v_sub_f32_e32 v12, v40, v41
	;; [unrolled: 1-line block ×3, first 2 shown]
	v_fmac_f32_e32 v55, 0xbf737871, v8
	v_fmac_f32_e32 v56, 0x3f167918, v9
	v_add_f32_e32 v12, v12, v13
	v_fmac_f32_e32 v55, 0xbf167918, v9
	v_fmac_f32_e32 v56, 0x3e9e377a, v12
	;; [unrolled: 1-line block ×3, first 2 shown]
	v_add_f32_e32 v12, v40, v43
	v_fma_f32 v57, -0.5, v12, v44
	v_fmamk_f32 v58, v9, 0xbf737871, v57
	v_sub_f32_e32 v12, v41, v40
	v_sub_f32_e32 v13, v42, v43
	v_fmac_f32_e32 v57, 0x3f737871, v9
	v_fmac_f32_e32 v58, 0x3f167918, v8
	v_add_f32_e32 v12, v12, v13
	v_fmac_f32_e32 v57, 0xbf167918, v8
	s_waitcnt vmcnt(0)
	v_mov_b32_e32 v9, v20
	v_mov_b32_e32 v46, v39
	v_mov_b32_e32 v20, v23
	v_fmac_f32_e32 v58, 0x3e9e377a, v12
	v_fmac_f32_e32 v57, 0x3e9e377a, v12
	v_mov_b32_e32 v24, v27
	v_mov_b32_e32 v8, v22
	v_pk_mul_f32 v[12:13], v[46:47], v[20:21]
	v_mov_b32_e32 v7, v18
	v_pk_fma_f32 v[22:23], v[24:25], v[8:9], v[12:13] neg_lo:[0,0,1] neg_hi:[0,0,1]
	v_pk_mul_f32 v[12:13], v[24:25], v[20:21]
	v_mov_b32_e32 v50, v49
	v_pk_fma_f32 v[14:15], v[46:47], v[8:9], v[12:13]
	v_mov_b32_e32 v9, v18
	v_mov_b32_e32 v18, v17
	;; [unrolled: 1-line block ×4, first 2 shown]
	v_pk_mul_f32 v[12:13], v[50:51], v[18:19]
	v_mov_b32_e32 v6, v17
	v_pk_fma_f32 v[26:27], v[30:31], v[8:9], v[12:13] neg_lo:[0,0,1] neg_hi:[0,0,1]
	v_mov_b32_e32 v30, v49
	v_mov_b32_e32 v17, v19
	;; [unrolled: 1-line block ×3, first 2 shown]
	v_pk_mul_f32 v[8:9], v[30:31], v[16:17]
	v_mov_b32_e32 v16, v22
	v_pk_fma_f32 v[24:25], v[50:51], v[6:7], v[8:9]
	v_add_f32_e32 v6, v45, v23
	v_add_f32_e32 v6, v6, v22
	v_add_f32_e32 v6, v6, v26
	v_mov_b32_e32 v8, v23
	v_mov_b32_e32 v9, v27
	;; [unrolled: 1-line block ×3, first 2 shown]
	v_add_f32_e32 v29, v6, v27
	v_pk_add_f32 v[6:7], v[22:23], v[26:27]
	v_mov_b32_e32 v20, v45
	v_pk_add_f32 v[18:19], v[8:9], v[16:17] neg_lo:[0,1] neg_hi:[0,1]
	v_fmac_f32_e32 v20, -0.5, v6
	v_mov_b32_e32 v6, v19
	v_pk_add_f32 v[8:9], v[16:17], v[8:9] neg_lo:[0,1] neg_hi:[0,1]
	v_pk_add_f32 v[18:19], v[18:19], v[6:7]
	v_add_f32_e32 v6, v8, v9
	v_pk_add_f32 v[12:13], v[14:15], v[24:25] neg_lo:[0,1] neg_hi:[0,1]
	v_mul_f32_e32 v7, 0.5, v7
	v_mul_f32_e32 v16, 0x3e9e377a, v6
	v_mov_b32_e32 v44, v15
	v_mov_b32_e32 v6, v25
	;; [unrolled: 1-line block ×3, first 2 shown]
	v_pk_add_f32 v[6:7], v[44:45], v[6:7] neg_lo:[0,1] neg_hi:[0,1]
	v_pk_mul_f32 v[18:19], v[18:19], s[4:5]
	v_fmamk_f32 v8, v6, 0x3f737871, v20
	v_add_f32_e32 v8, v19, v8
	v_fmac_f32_e32 v20, 0xbf737871, v6
	v_add_f32_e32 v9, v18, v8
	v_sub_f32_e32 v8, v20, v19
	v_mul_f32_e32 v13, 0x3f737871, v12
	v_add_f32_e32 v8, v18, v8
	v_fmamk_f32 v18, v12, 0xbf737871, v7
	v_mov_b32_e32 v12, 0x3f167918
	v_pk_mul_f32 v[20:21], v[6:7], s[12:13]
	v_pk_add_f32 v[44:45], v[6:7], v[12:13]
	v_mov_b32_e32 v19, v20
	v_pk_fma_f32 v[6:7], v[6:7], v[12:13], v[18:19]
	v_pk_add_f32 v[12:13], v[44:45], v[18:19] neg_lo:[0,1] neg_hi:[0,1]
	v_add3_u32 v44, 0, v1, v54
	v_mul_u32_u24_e32 v1, 0xc8, v52
	v_mov_b32_e32 v7, v13
	v_add3_u32 v45, 0, v1, v48
	v_add_u32_e32 v46, 0x7c0, v34
	v_add_u32_e32 v47, 0xfa0, v34
	v_pk_add_f32 v[6:7], v[16:17], v[6:7] op_sel_hi:[0,1]
	ds_write2_b32 v44, v53, v56 offset1:10
	ds_write2_b32 v44, v58, v57 offset0:20 offset1:30
	ds_write_b32 v44, v55 offset:160
	ds_write2_b32 v45, v29, v9 offset1:10
	ds_write2_b32 v45, v6, v7 offset0:20 offset1:30
	ds_write_b32 v45, v8 offset:160
	s_waitcnt lgkmcnt(0)
	s_barrier
	ds_read2_b32 v[12:13], v34 offset1:250
	ds_read2_b32 v[18:19], v46 offset0:4 offset1:254
	ds_read2_b32 v[20:21], v47 offset1:250
	ds_read_b32 v39, v34 offset:6000
	v_mov_b32_e32 v28, v15
	v_mov_b32_e32 v30, v25
	;; [unrolled: 1-line block ×4, first 2 shown]
                                        ; implicit-def: $vgpr16
                                        ; implicit-def: $vgpr1
	s_and_saveexec_b64 s[12:13], vcc
	s_cbranch_execz .LBB0_15
; %bb.14:
	v_add_u32_e32 v1, 0x2b0, v34
	ds_read2_b32 v[6:7], v1 offset0:3 offset1:253
	v_add_u32_e32 v1, 0xa80, v34
	ds_read2_b32 v[8:9], v1 offset0:3 offset1:253
	;; [unrolled: 2-line block ×3, first 2 shown]
	ds_read_b32 v1, v34 offset:6700
.LBB0_15:
	s_or_b64 exec, exec, s[12:13]
	v_add_f32_e32 v49, v36, v37
	v_fma_f32 v49, -0.5, v49, v10
	v_sub_f32_e32 v40, v40, v43
	v_fmamk_f32 v43, v40, 0xbf737871, v49
	v_sub_f32_e32 v41, v41, v42
	v_sub_f32_e32 v42, v35, v36
	;; [unrolled: 1-line block ×3, first 2 shown]
	v_fmac_f32_e32 v49, 0x3f737871, v40
	v_fmac_f32_e32 v43, 0xbf167918, v41
	v_add_f32_e32 v42, v42, v50
	v_fmac_f32_e32 v49, 0x3f167918, v41
	v_fmac_f32_e32 v43, 0x3e9e377a, v42
	;; [unrolled: 1-line block ×3, first 2 shown]
	v_add_f32_e32 v42, v35, v38
	v_fma_f32 v42, -0.5, v42, v10
	v_add_f32_e32 v48, v10, v35
	v_fmamk_f32 v50, v41, 0x3f737871, v42
	v_sub_f32_e32 v10, v36, v35
	v_sub_f32_e32 v35, v37, v38
	v_fmac_f32_e32 v42, 0xbf737871, v41
	v_fmac_f32_e32 v50, 0xbf167918, v40
	v_add_f32_e32 v10, v10, v35
	v_fmac_f32_e32 v42, 0x3f167918, v40
	v_fmac_f32_e32 v50, 0x3e9e377a, v10
	;; [unrolled: 1-line block ×3, first 2 shown]
	v_add_f32_e32 v10, v11, v15
	v_add_f32_e32 v10, v10, v14
	;; [unrolled: 1-line block ×4, first 2 shown]
	v_pk_add_f32 v[22:23], v[22:23], v[26:27] neg_lo:[0,1] neg_hi:[0,1]
	v_pk_add_f32 v[26:27], v[14:15], v[24:25]
	v_mov_b32_e32 v10, v11
	v_add_f32_e32 v48, v48, v36
	v_pk_fma_f32 v[10:11], -0.5, v[26:27], v[10:11] op_sel_hi:[0,1,0]
	s_mov_b32 s12, s5
	v_add_f32_e32 v48, v48, v37
	v_pk_fma_f32 v[26:27], v[22:23], s[10:11], v[10:11] op_sel:[0,0,1] op_sel_hi:[1,0,0] neg_lo:[1,0,0] neg_hi:[1,0,0]
	v_pk_mul_f32 v[36:37], v[22:23], s[12:13] op_sel_hi:[1,0]
	v_pk_fma_f32 v[10:11], v[22:23], s[10:11], v[10:11] op_sel:[0,0,1] op_sel_hi:[1,0,0]
	v_pk_add_f32 v[14:15], v[14:15], v[28:29] neg_lo:[0,1] neg_hi:[0,1]
	v_pk_add_f32 v[24:25], v[24:25], v[30:31] neg_lo:[0,1] neg_hi:[0,1]
	v_pk_add_f32 v[22:23], v[10:11], v[36:37] op_sel:[0,1] op_sel_hi:[1,0] neg_lo:[0,1] neg_hi:[0,1]
	v_pk_add_f32 v[10:11], v[10:11], v[36:37] op_sel:[0,1] op_sel_hi:[1,0]
	v_pk_add_f32 v[14:15], v[14:15], v[24:25]
	v_mov_b32_e32 v23, v11
	v_add_f32_e32 v48, v48, v38
	v_pk_mul_f32 v[24:25], v[14:15], s[4:5] op_sel_hi:[1,0]
	v_sub_f32_e32 v27, v27, v36
	v_pk_fma_f32 v[10:11], v[14:15], s[4:5], v[22:23] op_sel_hi:[1,0,1]
	v_add_f32_e32 v14, v37, v26
	v_add_f32_e32 v25, v25, v27
	;; [unrolled: 1-line block ×3, first 2 shown]
	s_waitcnt lgkmcnt(0)
	s_barrier
	ds_write2_b32 v44, v48, v43 offset1:10
	ds_write2_b32 v44, v50, v42 offset0:20 offset1:30
	ds_write_b32 v44, v49 offset:160
	ds_write2_b32 v45, v35, v25 offset1:10
	ds_write2_b32 v45, v10, v23 offset0:20 offset1:30
	ds_write_b32 v45, v11 offset:160
	s_waitcnt lgkmcnt(0)
	s_barrier
	ds_read2_b32 v[14:15], v34 offset1:250
	ds_read2_b32 v[28:29], v46 offset0:4 offset1:254
	ds_read2_b32 v[30:31], v47 offset1:250
	ds_read_b32 v38, v34 offset:6000
                                        ; implicit-def: $vgpr24
                                        ; implicit-def: $vgpr37
                                        ; implicit-def: $vgpr27
	s_and_saveexec_b64 s[4:5], vcc
	s_cbranch_execz .LBB0_17
; %bb.16:
	v_add_u32_e32 v10, 0x2b0, v34
	ds_read2_b32 v[22:23], v10 offset0:3 offset1:253
	v_add_u32_e32 v10, 0xa80, v34
	ds_read2_b32 v[26:27], v10 offset0:3 offset1:253
	;; [unrolled: 2-line block ×3, first 2 shown]
	ds_read_b32 v37, v34 offset:6700
	s_waitcnt lgkmcnt(3)
	v_mov_b32_e32 v10, v22
	s_waitcnt lgkmcnt(2)
	v_mov_b32_e32 v11, v26
.LBB0_17:
	s_or_b64 exec, exec, s[4:5]
	v_mov_b32_e32 v22, 41
	v_mul_lo_u16_sdwa v26, v32, v22 dst_sel:DWORD dst_unused:UNUSED_PAD src0_sel:BYTE_0 src1_sel:DWORD
	v_lshrrev_b16_e32 v45, 11, v26
	v_mul_lo_u16_e32 v26, 50, v45
	v_sub_u16_e32 v66, v32, v26
	v_mov_b32_e32 v26, 6
	v_mul_u32_u24_sdwa v26, v66, v26 dst_sel:DWORD dst_unused:UNUSED_PAD src0_sel:BYTE_0 src1_sel:DWORD
	v_lshlrev_b32_e32 v26, 3, v26
	global_load_dwordx4 v[40:43], v26, s[8:9] offset:416
	global_load_dwordx4 v[46:49], v26, s[8:9] offset:384
	;; [unrolled: 1-line block ×3, first 2 shown]
	v_lshrrev_b16_e32 v26, 1, v33
	v_mul_u32_u24_e32 v26, 0x147b, v26
	v_lshrrev_b32_e32 v26, 17, v26
	v_mul_lo_u16_e32 v26, 50, v26
	v_sub_u16_e32 v67, v33, v26
	v_mul_u32_u24_e32 v26, 6, v67
	v_lshlrev_b32_e32 v44, 3, v26
	global_load_dwordx4 v[54:57], v44, s[8:9] offset:384
	global_load_dwordx4 v[58:61], v44, s[8:9] offset:400
	s_mov_b32 s10, 0x3f5ff5aa
	s_mov_b32 s11, 0x3f3bfb3b
	;; [unrolled: 1-line block ×4, first 2 shown]
	s_waitcnt vmcnt(4) lgkmcnt(1)
	v_mul_f32_e32 v62, v31, v41
	v_mul_f32_e32 v26, v21, v41
	v_fma_f32 v21, v21, v40, -v62
	global_load_dwordx4 v[62:65], v44, s[8:9] offset:416
	v_mul_f32_e32 v36, v39, v43
	s_waitcnt lgkmcnt(0)
	v_mul_f32_e32 v35, v38, v43
	v_fmac_f32_e32 v36, v38, v42
	s_waitcnt vmcnt(3)
	v_mul_f32_e32 v38, v30, v53
	v_fma_f32 v35, v39, v42, -v35
	v_fma_f32 v38, v20, v52, -v38
	v_mul_f32_e32 v39, v20, v53
	v_mul_f32_e32 v20, v29, v51
	v_fmac_f32_e32 v26, v31, v40
	v_mul_f32_e32 v31, v15, v47
	v_fma_f32 v40, v19, v50, -v20
	v_mul_f32_e32 v20, v28, v49
	v_mul_f32_e32 v43, v18, v49
	;; [unrolled: 1-line block ×3, first 2 shown]
	v_fmac_f32_e32 v39, v30, v52
	v_mul_f32_e32 v41, v19, v51
	s_waitcnt vmcnt(2)
	v_mul_f32_e32 v30, v23, v55
	v_fma_f32 v44, v18, v48, -v20
	v_mul_f32_e32 v18, v8, v57
	v_fmac_f32_e32 v43, v28, v48
	s_waitcnt vmcnt(1)
	v_mul_f32_e32 v48, v27, v59
	v_fma_f32 v13, v13, v46, -v31
	v_fmac_f32_e32 v41, v29, v50
	v_mul_f32_e32 v19, v7, v55
	v_mul_f32_e32 v47, v11, v57
	;; [unrolled: 1-line block ×3, first 2 shown]
	v_fmac_f32_e32 v42, v15, v46
	v_mul_f32_e32 v15, v24, v61
	v_mul_f32_e32 v28, v16, v61
	v_fma_f32 v30, v7, v54, -v30
	v_fmac_f32_e32 v18, v11, v56
	v_fma_f32 v11, v9, v58, -v48
	v_add_f32_e32 v7, v13, v35
	v_add_f32_e32 v9, v44, v21
	v_fmac_f32_e32 v20, v27, v58
	v_fma_f32 v27, v16, v60, -v15
	v_fmac_f32_e32 v28, v24, v60
	v_sub_f32_e32 v15, v43, v26
	v_add_f32_e32 v16, v40, v38
	v_fmac_f32_e32 v19, v23, v54
	v_fma_f32 v23, v8, v56, -v47
	v_sub_f32_e32 v8, v42, v36
	s_barrier
	s_waitcnt vmcnt(0)
	v_mul_f32_e32 v46, v25, v63
	v_mul_f32_e32 v29, v17, v63
	;; [unrolled: 1-line block ×3, first 2 shown]
	v_fma_f32 v24, v17, v62, -v46
	v_fmac_f32_e32 v29, v25, v62
	v_sub_f32_e32 v17, v39, v41
	v_add_f32_e32 v25, v9, v7
	v_mul_f32_e32 v49, v37, v65
	v_fmac_f32_e32 v31, v37, v64
	v_sub_f32_e32 v37, v9, v7
	v_sub_f32_e32 v7, v7, v16
	;; [unrolled: 1-line block ×3, first 2 shown]
	v_add_f32_e32 v46, v17, v15
	v_sub_f32_e32 v47, v17, v15
	v_add_f32_e32 v16, v16, v25
	v_sub_f32_e32 v17, v8, v17
	v_sub_f32_e32 v15, v15, v8
	v_add_f32_e32 v8, v46, v8
	v_mul_f32_e32 v7, 0x3f4a47b2, v7
	v_mul_f32_e32 v25, 0x3d64c772, v9
	;; [unrolled: 1-line block ×3, first 2 shown]
	v_add_f32_e32 v12, v12, v16
	v_mul_f32_e32 v47, 0x3f5ff5aa, v15
	v_fma_f32 v25, v37, s11, -v25
	v_fmamk_f32 v16, v16, 0xbf955555, v12
	v_fma_f32 v37, v37, s12, -v7
	v_fmac_f32_e32 v7, 0x3d64c772, v9
	v_fma_f32 v9, v15, s10, -v46
	v_fmac_f32_e32 v46, 0x3eae86e6, v17
	v_fma_f32 v15, v17, s13, -v47
	v_add_f32_e32 v17, v25, v16
	v_fmac_f32_e32 v9, 0x3ee1c552, v8
	v_add_f32_e32 v7, v7, v16
	v_add_f32_e32 v16, v37, v16
	v_fmac_f32_e32 v15, 0x3ee1c552, v8
	v_sub_f32_e32 v47, v17, v9
	v_add_f32_e32 v9, v9, v17
	v_mov_b32_e32 v17, 2
	v_fmac_f32_e32 v46, 0x3ee1c552, v8
	v_add_f32_e32 v25, v15, v16
	v_sub_f32_e32 v15, v16, v15
	v_mul_u32_u24_e32 v16, 0x578, v45
	v_lshlrev_b32_sdwa v17, v17, v66 dst_sel:DWORD dst_unused:UNUSED_PAD src0_sel:DWORD src1_sel:BYTE_0
	v_add_f32_e32 v8, v46, v7
	v_add3_u32 v37, 0, v16, v17
	v_fma_f32 v1, v1, v64, -v49
	v_sub_f32_e32 v7, v7, v46
	ds_write2_b32 v37, v12, v8 offset1:50
	ds_write2_b32 v37, v25, v47 offset0:100 offset1:150
	ds_write2_b32 v37, v9, v15 offset0:200 offset1:250
	ds_write_b32 v37, v7 offset:1200
	v_lshlrev_b32_e32 v25, 2, v67
	s_and_saveexec_b64 s[4:5], vcc
	s_cbranch_execz .LBB0_19
; %bb.18:
	v_add_f32_e32 v7, v30, v1
	v_add_f32_e32 v12, v23, v24
	;; [unrolled: 1-line block ×4, first 2 shown]
	v_sub_f32_e32 v45, v28, v20
	v_sub_f32_e32 v47, v18, v29
	;; [unrolled: 1-line block ×4, first 2 shown]
	v_add_f32_e32 v8, v8, v17
	v_sub_f32_e32 v17, v19, v31
	v_sub_f32_e32 v48, v45, v47
	v_mul_f32_e32 v9, 0x3f4a47b2, v9
	v_mul_f32_e32 v16, 0x3d64c772, v15
	v_add_f32_e32 v6, v6, v8
	v_sub_f32_e32 v46, v17, v45
	v_mul_f32_e32 v48, 0xbf08b237, v48
	v_add_f32_e32 v45, v45, v47
	v_sub_f32_e32 v7, v12, v7
	v_sub_f32_e32 v12, v47, v17
	v_fmamk_f32 v15, v15, 0x3d64c772, v9
	v_fmamk_f32 v8, v8, 0xbf955555, v6
	;; [unrolled: 1-line block ×3, first 2 shown]
	v_add_f32_e32 v45, v45, v17
	v_fma_f32 v9, v7, s12, -v9
	v_mul_f32_e32 v17, 0x3f5ff5aa, v12
	v_fma_f32 v12, v12, s10, -v48
	v_fma_f32 v7, v7, s11, -v16
	v_add_f32_e32 v15, v15, v8
	v_fmac_f32_e32 v49, 0x3ee1c552, v45
	v_fmac_f32_e32 v12, 0x3ee1c552, v45
	v_add_f32_e32 v7, v7, v8
	v_sub_f32_e32 v50, v15, v49
	v_add_f32_e32 v9, v9, v8
	v_add_f32_e32 v8, v12, v7
	v_sub_f32_e32 v7, v7, v12
	v_add_f32_e32 v12, v49, v15
	v_mul_lo_u16_sdwa v15, v33, v22 dst_sel:DWORD dst_unused:UNUSED_PAD src0_sel:BYTE_0 src1_sel:DWORD
	v_lshrrev_b16_e32 v15, 11, v15
	v_fma_f32 v17, v46, s13, -v17
	v_mul_u32_u24_e32 v15, 0x578, v15
	v_fmac_f32_e32 v17, 0x3ee1c552, v45
	v_add3_u32 v15, 0, v15, v25
	v_sub_f32_e32 v46, v9, v17
	v_add_f32_e32 v9, v17, v9
	ds_write2_b32 v15, v6, v12 offset1:50
	ds_write2_b32 v15, v9, v7 offset0:100 offset1:150
	ds_write2_b32 v15, v8, v46 offset0:200 offset1:250
	ds_write_b32 v15, v50 offset:1200
.LBB0_19:
	s_or_b64 exec, exec, s[4:5]
	v_add_f32_e32 v6, v42, v36
	v_add_f32_e32 v8, v43, v26
	v_sub_f32_e32 v7, v13, v35
	v_sub_f32_e32 v9, v44, v21
	v_add_f32_e32 v12, v41, v39
	v_sub_f32_e32 v13, v38, v40
	v_add_f32_e32 v15, v8, v6
	v_sub_f32_e32 v16, v8, v6
	v_sub_f32_e32 v6, v6, v12
	;; [unrolled: 1-line block ×3, first 2 shown]
	v_add_f32_e32 v17, v13, v9
	v_sub_f32_e32 v21, v13, v9
	v_sub_f32_e32 v9, v9, v7
	v_add_f32_e32 v12, v12, v15
	v_sub_f32_e32 v13, v7, v13
	v_add_f32_e32 v7, v17, v7
	v_add_f32_e32 v22, v14, v12
	v_mul_f32_e32 v6, 0x3f4a47b2, v6
	v_mul_f32_e32 v14, 0x3d64c772, v8
	;; [unrolled: 1-line block ×4, first 2 shown]
	v_fmamk_f32 v12, v12, 0xbf955555, v22
	v_fma_f32 v14, v16, s11, -v14
	v_fma_f32 v16, v16, s12, -v6
	v_fmac_f32_e32 v6, 0x3d64c772, v8
	v_fma_f32 v8, v9, s10, -v15
	v_fma_f32 v9, v13, s13, -v17
	v_fmac_f32_e32 v15, 0x3eae86e6, v13
	v_add_f32_e32 v6, v6, v12
	v_add_f32_e32 v13, v14, v12
	;; [unrolled: 1-line block ×3, first 2 shown]
	v_fmac_f32_e32 v9, 0x3ee1c552, v7
	v_sub_f32_e32 v26, v12, v9
	v_add_f32_e32 v38, v9, v12
	v_add_u32_e32 v12, 0xa00, v34
	v_fmac_f32_e32 v15, 0x3ee1c552, v7
	v_fmac_f32_e32 v8, 0x3ee1c552, v7
	s_waitcnt lgkmcnt(0)
	s_barrier
	ds_read2_b32 v[16:17], v12 offset0:60 offset1:235
	v_add_u32_e32 v12, 0x1000, v34
	v_sub_f32_e32 v21, v6, v15
	v_add_f32_e32 v35, v8, v13
	v_sub_f32_e32 v36, v13, v8
	v_add_f32_e32 v39, v15, v6
	v_add_u32_e32 v8, 0x500, v34
	ds_read2_b32 v[14:15], v12 offset0:26 offset1:201
	v_add_u32_e32 v12, 0x1500, v34
	ds_read2_b32 v[6:7], v34 offset1:175
	ds_read2_b32 v[8:9], v8 offset0:30 offset1:205
	ds_read2_b32 v[12:13], v12 offset0:56 offset1:231
	s_waitcnt lgkmcnt(0)
	s_barrier
	ds_write2_b32 v37, v22, v21 offset1:50
	ds_write2_b32 v37, v26, v35 offset0:100 offset1:150
	ds_write2_b32 v37, v36, v38 offset0:200 offset1:250
	ds_write_b32 v37, v39 offset:1200
	s_and_saveexec_b64 s[4:5], vcc
	s_cbranch_execz .LBB0_21
; %bb.20:
	v_add_f32_e32 v19, v19, v31
	v_add_f32_e32 v18, v18, v29
	;; [unrolled: 1-line block ×3, first 2 shown]
	v_sub_f32_e32 v21, v23, v24
	v_sub_f32_e32 v11, v27, v11
	v_add_f32_e32 v22, v18, v19
	v_sub_f32_e32 v23, v18, v19
	v_sub_f32_e32 v18, v20, v18
	;; [unrolled: 1-line block ×4, first 2 shown]
	v_add_f32_e32 v24, v11, v21
	v_sub_f32_e32 v26, v11, v21
	v_add_f32_e32 v20, v20, v22
	v_mul_f32_e32 v22, 0x3d64c772, v18
	v_sub_f32_e32 v11, v1, v11
	v_sub_f32_e32 v21, v21, v1
	v_add_f32_e32 v1, v24, v1
	v_add_f32_e32 v10, v10, v20
	v_mul_f32_e32 v19, 0x3f4a47b2, v19
	v_mul_f32_e32 v24, 0xbf08b237, v26
	v_fma_f32 v22, v23, s11, -v22
	s_mov_b32 s11, 0xbf3bfb3b
	v_mul_f32_e32 v26, 0x3f5ff5aa, v21
	v_fmamk_f32 v20, v20, 0xbf955555, v10
	v_fma_f32 v23, v23, s11, -v19
	v_fmac_f32_e32 v19, 0x3d64c772, v18
	v_fmamk_f32 v18, v11, 0x3eae86e6, v24
	v_fma_f32 v21, v21, s10, -v24
	s_mov_b32 s10, 0xbeae86e6
	v_fma_f32 v11, v11, s10, -v26
	v_add_f32_e32 v19, v19, v20
	v_fmac_f32_e32 v18, 0x3ee1c552, v1
	v_fmac_f32_e32 v21, 0x3ee1c552, v1
	;; [unrolled: 1-line block ×3, first 2 shown]
	v_sub_f32_e32 v1, v19, v18
	v_add_f32_e32 v18, v18, v19
	v_mov_b32_e32 v19, 41
	v_mul_lo_u16_sdwa v19, v33, v19 dst_sel:DWORD dst_unused:UNUSED_PAD src0_sel:BYTE_0 src1_sel:DWORD
	v_lshrrev_b16_e32 v19, 11, v19
	v_mul_u32_u24_e32 v19, 0x578, v19
	v_add_f32_e32 v22, v22, v20
	v_add_f32_e32 v20, v23, v20
	v_add3_u32 v19, 0, v19, v25
	v_sub_f32_e32 v23, v20, v11
	v_add_f32_e32 v24, v21, v22
	v_sub_f32_e32 v21, v22, v21
	v_add_f32_e32 v11, v11, v20
	ds_write2_b32 v19, v10, v1 offset1:50
	ds_write2_b32 v19, v23, v24 offset0:100 offset1:150
	ds_write2_b32 v19, v21, v11 offset0:200 offset1:250
	ds_write_b32 v19, v18 offset:1200
.LBB0_21:
	s_or_b64 exec, exec, s[4:5]
	s_waitcnt lgkmcnt(0)
	s_barrier
	s_and_saveexec_b64 s[4:5], s[0:1]
	s_cbranch_execz .LBB0_23
; %bb.22:
	v_mov_b32_e32 v11, 0
	v_mov_b32_e32 v1, v11
	v_lshl_add_u64 v[0:1], v[0:1], 3, s[8:9]
	global_load_dwordx4 v[18:21], v[0:1], off offset:2784
	global_load_dwordx4 v[22:25], v[0:1], off offset:2800
	v_lshlrev_b32_e32 v10, 2, v33
	v_mul_lo_u32 v26, s3, v4
	v_mul_lo_u32 v27, s2, v5
	v_mad_u64_u32 v[4:5], s[0:1], s2, v4, 0
	v_add_u32_e32 v28, 0x500, v34
	v_add_u32_e32 v29, 0xa00, v34
	v_lshl_add_u64 v[40:41], v[10:11], 3, s[8:9]
	v_add_u32_e32 v31, 0x1500, v34
	v_add_u32_e32 v33, 0x1000, v34
	ds_read2_b32 v[0:1], v34 offset1:175
	v_add3_u32 v5, v5, v27, v26
	ds_read2_b32 v[38:39], v28 offset0:30 offset1:205
	ds_read2_b32 v[42:43], v29 offset0:60 offset1:235
	;; [unrolled: 1-line block ×4, first 2 shown]
	global_load_dwordx4 v[26:29], v[40:41], off offset:2800
	global_load_dwordx4 v[34:37], v[40:41], off offset:2784
	s_mov_b32 s1, 0x5d9f7391
	v_mov_b32_e32 v30, v6
	v_mul_hi_u32 v6, v32, s1
	v_lshrrev_b32_e32 v6, 7, v6
	s_waitcnt lgkmcnt(4)
	v_mov_b32_e32 v31, v0
	v_lshl_add_u64 v[4:5], v[4:5], 3, s[6:7]
	v_mul_u32_u24_e32 v6, 0x15e, v6
	s_mov_b32 s0, 0x3f737871
	v_lshl_add_u64 v[2:3], v[2:3], 3, v[4:5]
	v_sub_u32_e32 v4, v32, v6
	s_movk_i32 s3, 0x1000
	s_mov_b32 s2, 0x3f167918
	v_lshlrev_b32_e32 v10, 3, v4
	v_lshl_add_u64 v[4:5], v[2:3], 0, v[10:11]
	s_mov_b32 s4, 0x3e9e377a
	v_add_u32_e32 v0, 0xaf, v32
	v_mov_b32_e32 v6, v17
	s_waitcnt vmcnt(3)
	v_mov_b32_e32 v40, v21
	v_mov_b32_e32 v41, v20
	s_waitcnt lgkmcnt(3)
	v_pk_mul_f32 v[48:49], v[38:39], v[18:19] op_sel:[0,1] op_sel_hi:[0,0]
	s_waitcnt vmcnt(2) lgkmcnt(0)
	v_pk_mul_f32 v[50:51], v[46:47], v[22:23] op_sel:[0,1] op_sel_hi:[0,0]
	v_mov_b32_e32 v52, v25
	v_mov_b32_e32 v53, v24
	v_pk_mul_f32 v[40:41], v[42:43], v[40:41] op_sel_hi:[0,1]
	v_pk_fma_f32 v[54:55], v[8:9], v[18:19], v[48:49] neg_lo:[0,0,1] neg_hi:[0,0,1]
	v_pk_fma_f32 v[18:19], v[8:9], v[18:19], v[48:49] op_sel_hi:[0,1,1]
	v_pk_fma_f32 v[48:49], v[14:15], v[22:23], v[50:51] neg_lo:[0,0,1] neg_hi:[0,0,1]
	v_pk_fma_f32 v[22:23], v[14:15], v[22:23], v[50:51] op_sel_hi:[0,1,1]
	v_pk_mul_f32 v[50:51], v[44:45], v[52:53] op_sel_hi:[0,1]
	v_pk_fma_f32 v[52:53], v[16:17], v[20:21], v[40:41] neg_lo:[0,0,1] neg_hi:[0,0,1]
	v_pk_fma_f32 v[20:21], v[16:17], v[20:21], v[40:41] op_sel_hi:[0,1,1]
	v_mov_b32_e32 v55, v19
	v_mov_b32_e32 v49, v23
	v_pk_fma_f32 v[18:19], v[12:13], v[24:25], v[50:51] neg_lo:[0,0,1] neg_hi:[0,0,1]
	v_pk_fma_f32 v[22:23], v[12:13], v[24:25], v[50:51] op_sel_hi:[0,1,1]
	v_mov_b32_e32 v53, v21
	v_mov_b32_e32 v19, v23
	v_pk_add_f32 v[20:21], v[30:31], v[54:55]
	v_pk_add_f32 v[22:23], v[52:53], v[48:49]
	v_pk_add_f32 v[20:21], v[20:21], v[52:53]
	v_pk_add_f32 v[24:25], v[54:55], v[18:19] neg_lo:[0,1] neg_hi:[0,1]
	v_pk_add_f32 v[40:41], v[52:53], v[48:49] neg_lo:[0,1] neg_hi:[0,1]
	v_pk_add_f32 v[50:51], v[54:55], v[52:53] neg_lo:[0,1] neg_hi:[0,1]
	v_pk_add_f32 v[56:57], v[18:19], v[48:49] neg_lo:[0,1] neg_hi:[0,1]
	v_pk_add_f32 v[52:53], v[52:53], v[54:55] neg_lo:[0,1] neg_hi:[0,1]
	v_pk_add_f32 v[58:59], v[48:49], v[18:19] neg_lo:[0,1] neg_hi:[0,1]
	v_pk_add_f32 v[54:55], v[54:55], v[18:19]
	v_pk_add_f32 v[20:21], v[20:21], v[48:49]
	v_pk_fma_f32 v[22:23], v[22:23], 0.5, v[30:31] op_sel_hi:[1,0,1] neg_lo:[1,0,0] neg_hi:[1,0,0]
	v_pk_mul_f32 v[48:49], v[24:25], s[0:1] op_sel_hi:[1,0]
	v_pk_mul_f32 v[60:61], v[40:41], s[2:3] op_sel_hi:[1,0]
	v_pk_fma_f32 v[30:31], v[54:55], 0.5, v[30:31] op_sel_hi:[1,0,1] neg_lo:[1,0,0] neg_hi:[1,0,0]
	v_pk_mul_f32 v[40:41], v[40:41], s[0:1] op_sel_hi:[1,0]
	v_pk_add_f32 v[18:19], v[18:19], v[20:21]
	v_pk_add_f32 v[20:21], v[22:23], v[48:49] op_sel:[0,1] op_sel_hi:[1,0]
	v_pk_add_f32 v[22:23], v[22:23], v[48:49] op_sel:[0,1] op_sel_hi:[1,0] neg_lo:[0,1] neg_hi:[0,1]
	v_pk_mul_f32 v[24:25], v[24:25], s[2:3] op_sel_hi:[1,0]
	v_pk_add_f32 v[48:49], v[30:31], v[40:41] op_sel:[0,1] op_sel_hi:[1,0] neg_lo:[0,1] neg_hi:[0,1]
	v_pk_add_f32 v[30:31], v[30:31], v[40:41] op_sel:[0,1] op_sel_hi:[1,0]
	global_store_dwordx2 v[4:5], v[18:19], off
	v_pk_add_f32 v[18:19], v[22:23], v[60:61] op_sel:[0,1] op_sel_hi:[1,0] neg_lo:[0,1] neg_hi:[0,1]
	v_pk_add_f32 v[20:21], v[20:21], v[60:61] op_sel:[0,1] op_sel_hi:[1,0]
	v_pk_add_f32 v[50:51], v[50:51], v[56:57]
	v_pk_add_f32 v[22:23], v[30:31], v[24:25] op_sel:[0,1] op_sel_hi:[1,0] neg_lo:[0,1] neg_hi:[0,1]
	v_mov_b32_e32 v30, v20
	v_mov_b32_e32 v31, v19
	v_pk_fma_f32 v[30:31], v[50:51], s[4:5], v[30:31] op_sel_hi:[1,0,1]
	global_store_dwordx2 v[4:5], v[30:31], off offset:2800
	v_add_co_u32_e32 v30, vcc, s3, v4
	v_pk_add_f32 v[24:25], v[48:49], v[24:25] op_sel:[0,1] op_sel_hi:[1,0]
	s_nop 0
	v_addc_co_u32_e32 v31, vcc, 0, v5, vcc
	s_movk_i32 s3, 0x2000
	v_pk_add_f32 v[52:53], v[52:53], v[58:59]
	v_mov_b32_e32 v41, v23
	v_mov_b32_e32 v23, v25
	v_add_co_u32_e32 v4, vcc, s3, v4
	v_mov_b32_e32 v19, v21
	v_pk_fma_f32 v[22:23], v[52:53], s[4:5], v[22:23] op_sel_hi:[1,0,1]
	v_addc_co_u32_e32 v5, vcc, 0, v5, vcc
	v_pk_fma_f32 v[18:19], v[50:51], s[4:5], v[18:19] op_sel_hi:[1,0,1]
	global_store_dwordx2 v[4:5], v[22:23], off offset:208
	global_store_dwordx2 v[4:5], v[18:19], off offset:3008
	v_mul_hi_u32 v4, v0, s1
	v_lshrrev_b32_e32 v4, 7, v4
	v_mul_u32_u24_e32 v5, 0x15e, v4
	v_sub_u32_e32 v0, v0, v5
	s_movk_i32 s1, 0x6d6
	v_mad_u32_u24 v10, v4, s1, v0
	v_lshl_add_u64 v[4:5], v[10:11], 3, v[2:3]
	v_add_u32_e32 v18, 0x15e, v10
	v_mov_b32_e32 v19, v11
	v_add_u32_e32 v20, 0x2bc, v10
	v_mov_b32_e32 v21, v11
	;; [unrolled: 2-line block ×3, first 2 shown]
	v_add_u32_e32 v10, 0x578, v10
	v_lshl_add_u64 v[18:19], v[18:19], 3, v[2:3]
	v_lshl_add_u64 v[20:21], v[20:21], 3, v[2:3]
	;; [unrolled: 1-line block ×4, first 2 shown]
	v_mov_b32_e32 v8, v43
	s_waitcnt vmcnt(4)
	v_mov_b32_e32 v10, v37
	v_mov_b32_e32 v11, v36
	;; [unrolled: 1-line block ×3, first 2 shown]
	v_pk_mul_f32 v[10:11], v[8:9], v[10:11] op_sel_hi:[0,1]
	v_pk_fma_f32 v[16:17], v[0:1], v[36:37], v[10:11] neg_lo:[0,0,1] neg_hi:[0,0,1]
	v_pk_fma_f32 v[10:11], v[6:7], v[36:37], v[10:11] op_sel_hi:[0,1,1]
	v_mov_b32_e32 v8, v47
	v_mov_b32_e32 v17, v11
	;; [unrolled: 1-line block ×4, first 2 shown]
	v_pk_mul_f32 v[10:11], v[8:9], v[26:27] op_sel:[0,1] op_sel_hi:[0,0]
	v_mov_b32_e32 v8, v39
	v_pk_fma_f32 v[14:15], v[0:1], v[26:27], v[10:11] neg_lo:[0,0,1] neg_hi:[0,0,1]
	v_pk_fma_f32 v[10:11], v[6:7], v[26:27], v[10:11] op_sel_hi:[0,1,1]
	v_mov_b32_e32 v0, v9
	v_mov_b32_e32 v6, v9
	v_pk_mul_f32 v[8:9], v[8:9], v[34:35] op_sel:[0,1] op_sel_hi:[0,0]
	v_mov_b32_e32 v15, v11
	v_pk_fma_f32 v[10:11], v[0:1], v[34:35], v[8:9] neg_lo:[0,0,1] neg_hi:[0,0,1]
	v_pk_fma_f32 v[8:9], v[6:7], v[34:35], v[8:9] op_sel_hi:[0,1,1]
	v_mov_b32_e32 v0, v13
	v_mov_b32_e32 v6, v13
	;; [unrolled: 1-line block ×6, first 2 shown]
	v_pk_mul_f32 v[8:9], v[8:9], v[12:13] op_sel_hi:[0,1]
	v_pk_fma_f32 v[12:13], v[0:1], v[28:29], v[8:9] neg_lo:[0,0,1] neg_hi:[0,0,1]
	v_pk_fma_f32 v[8:9], v[6:7], v[28:29], v[8:9] op_sel_hi:[0,1,1]
	v_mov_b32_e32 v13, v9
	v_mov_b32_e32 v40, v24
	v_pk_add_f32 v[8:9], v[10:11], v[16:17] neg_lo:[0,1] neg_hi:[0,1]
	v_pk_add_f32 v[24:25], v[12:13], v[14:15] neg_lo:[0,1] neg_hi:[0,1]
	v_mov_b32_e32 v0, v7
	v_pk_add_f32 v[8:9], v[8:9], v[24:25]
	v_pk_add_f32 v[24:25], v[16:17], v[14:15]
	;; [unrolled: 1-line block ×3, first 2 shown]
	v_pk_fma_f32 v[6:7], v[24:25], 0.5, v[0:1] op_sel_hi:[1,0,1] neg_lo:[1,0,0] neg_hi:[1,0,0]
	v_pk_add_f32 v[24:25], v[10:11], v[12:13] neg_lo:[0,1] neg_hi:[0,1]
	v_pk_add_f32 v[28:29], v[16:17], v[14:15] neg_lo:[0,1] neg_hi:[0,1]
	v_pk_fma_f32 v[26:27], v[24:25], s[0:1], v[6:7] op_sel:[1,0,0] op_sel_hi:[0,0,1] neg_lo:[1,0,0] neg_hi:[1,0,0]
	v_pk_fma_f32 v[6:7], v[24:25], s[0:1], v[6:7] op_sel:[1,0,0] op_sel_hi:[0,0,1]
	v_pk_add_f32 v[32:33], v[32:33], v[16:17]
	v_pk_fma_f32 v[40:41], v[52:53], s[4:5], v[40:41] op_sel_hi:[1,0,1]
	v_pk_fma_f32 v[6:7], v[28:29], s[2:3], v[6:7] op_sel:[1,0,0] op_sel_hi:[0,0,1]
	v_pk_fma_f32 v[26:27], v[28:29], s[2:3], v[26:27] op_sel:[1,0,0] op_sel_hi:[0,0,1] neg_lo:[1,0,0] neg_hi:[1,0,0]
	v_pk_add_f32 v[32:33], v[32:33], v[14:15]
	global_store_dwordx2 v[30:31], v[40:41], off offset:1504
	v_mov_b32_e32 v31, v7
	v_pk_add_f32 v[32:33], v[12:13], v[32:33]
	v_mov_b32_e32 v7, v27
	global_store_dwordx2 v[4:5], v[32:33], off
	v_pk_fma_f32 v[4:5], v[8:9], s[4:5], v[6:7] op_sel_hi:[1,0,1]
	global_store_dwordx2 v[18:19], v[4:5], off
	v_pk_add_f32 v[4:5], v[16:17], v[10:11] neg_lo:[0,1] neg_hi:[0,1]
	v_pk_add_f32 v[6:7], v[14:15], v[12:13] neg_lo:[0,1] neg_hi:[0,1]
	v_mov_b32_e32 v30, v26
	v_pk_add_f32 v[4:5], v[4:5], v[6:7]
	v_pk_add_f32 v[6:7], v[10:11], v[12:13]
	v_pk_fma_f32 v[30:31], v[8:9], s[4:5], v[30:31] op_sel_hi:[1,0,1]
	v_pk_fma_f32 v[0:1], v[6:7], 0.5, v[0:1] op_sel_hi:[1,0,1] neg_lo:[1,0,0] neg_hi:[1,0,0]
	s_nop 0
	v_pk_fma_f32 v[6:7], v[28:29], s[0:1], v[0:1] op_sel:[1,0,0] op_sel_hi:[0,0,1]
	v_pk_fma_f32 v[0:1], v[28:29], s[0:1], v[0:1] op_sel:[1,0,0] op_sel_hi:[0,0,1] neg_lo:[1,0,0] neg_hi:[1,0,0]
	v_pk_fma_f32 v[0:1], v[24:25], s[2:3], v[0:1] op_sel:[1,0,0] op_sel_hi:[0,0,1]
	v_pk_fma_f32 v[6:7], v[24:25], s[2:3], v[6:7] op_sel:[1,0,0] op_sel_hi:[0,0,1] neg_lo:[1,0,0] neg_hi:[1,0,0]
	v_mov_b32_e32 v9, v1
	v_mov_b32_e32 v1, v7
	;; [unrolled: 1-line block ×3, first 2 shown]
	v_pk_fma_f32 v[0:1], v[4:5], s[4:5], v[0:1] op_sel_hi:[1,0,1]
	v_pk_fma_f32 v[8:9], v[4:5], s[4:5], v[8:9] op_sel_hi:[1,0,1]
	global_store_dwordx2 v[20:21], v[0:1], off
	global_store_dwordx2 v[22:23], v[8:9], off
	;; [unrolled: 1-line block ×3, first 2 shown]
.LBB0_23:
	s_endpgm
	.section	.rodata,"a",@progbits
	.p2align	6, 0x0
	.amdhsa_kernel fft_rtc_fwd_len1750_factors_2_5_5_7_5_wgs_175_tpt_175_halfLds_sp_op_CI_CI_unitstride_sbrr_dirReg
		.amdhsa_group_segment_fixed_size 0
		.amdhsa_private_segment_fixed_size 0
		.amdhsa_kernarg_size 104
		.amdhsa_user_sgpr_count 2
		.amdhsa_user_sgpr_dispatch_ptr 0
		.amdhsa_user_sgpr_queue_ptr 0
		.amdhsa_user_sgpr_kernarg_segment_ptr 1
		.amdhsa_user_sgpr_dispatch_id 0
		.amdhsa_user_sgpr_kernarg_preload_length 0
		.amdhsa_user_sgpr_kernarg_preload_offset 0
		.amdhsa_user_sgpr_private_segment_size 0
		.amdhsa_uses_dynamic_stack 0
		.amdhsa_enable_private_segment 0
		.amdhsa_system_sgpr_workgroup_id_x 1
		.amdhsa_system_sgpr_workgroup_id_y 0
		.amdhsa_system_sgpr_workgroup_id_z 0
		.amdhsa_system_sgpr_workgroup_info 0
		.amdhsa_system_vgpr_workitem_id 0
		.amdhsa_next_free_vgpr 68
		.amdhsa_next_free_sgpr 28
		.amdhsa_accum_offset 68
		.amdhsa_reserve_vcc 1
		.amdhsa_float_round_mode_32 0
		.amdhsa_float_round_mode_16_64 0
		.amdhsa_float_denorm_mode_32 3
		.amdhsa_float_denorm_mode_16_64 3
		.amdhsa_dx10_clamp 1
		.amdhsa_ieee_mode 1
		.amdhsa_fp16_overflow 0
		.amdhsa_tg_split 0
		.amdhsa_exception_fp_ieee_invalid_op 0
		.amdhsa_exception_fp_denorm_src 0
		.amdhsa_exception_fp_ieee_div_zero 0
		.amdhsa_exception_fp_ieee_overflow 0
		.amdhsa_exception_fp_ieee_underflow 0
		.amdhsa_exception_fp_ieee_inexact 0
		.amdhsa_exception_int_div_zero 0
	.end_amdhsa_kernel
	.text
.Lfunc_end0:
	.size	fft_rtc_fwd_len1750_factors_2_5_5_7_5_wgs_175_tpt_175_halfLds_sp_op_CI_CI_unitstride_sbrr_dirReg, .Lfunc_end0-fft_rtc_fwd_len1750_factors_2_5_5_7_5_wgs_175_tpt_175_halfLds_sp_op_CI_CI_unitstride_sbrr_dirReg
                                        ; -- End function
	.section	.AMDGPU.csdata,"",@progbits
; Kernel info:
; codeLenInByte = 7516
; NumSgprs: 34
; NumVgprs: 68
; NumAgprs: 0
; TotalNumVgprs: 68
; ScratchSize: 0
; MemoryBound: 0
; FloatMode: 240
; IeeeMode: 1
; LDSByteSize: 0 bytes/workgroup (compile time only)
; SGPRBlocks: 4
; VGPRBlocks: 8
; NumSGPRsForWavesPerEU: 34
; NumVGPRsForWavesPerEU: 68
; AccumOffset: 68
; Occupancy: 7
; WaveLimiterHint : 1
; COMPUTE_PGM_RSRC2:SCRATCH_EN: 0
; COMPUTE_PGM_RSRC2:USER_SGPR: 2
; COMPUTE_PGM_RSRC2:TRAP_HANDLER: 0
; COMPUTE_PGM_RSRC2:TGID_X_EN: 1
; COMPUTE_PGM_RSRC2:TGID_Y_EN: 0
; COMPUTE_PGM_RSRC2:TGID_Z_EN: 0
; COMPUTE_PGM_RSRC2:TIDIG_COMP_CNT: 0
; COMPUTE_PGM_RSRC3_GFX90A:ACCUM_OFFSET: 16
; COMPUTE_PGM_RSRC3_GFX90A:TG_SPLIT: 0
	.text
	.p2alignl 6, 3212836864
	.fill 256, 4, 3212836864
	.type	__hip_cuid_cfd5b110f240f110,@object ; @__hip_cuid_cfd5b110f240f110
	.section	.bss,"aw",@nobits
	.globl	__hip_cuid_cfd5b110f240f110
__hip_cuid_cfd5b110f240f110:
	.byte	0                               ; 0x0
	.size	__hip_cuid_cfd5b110f240f110, 1

	.ident	"AMD clang version 19.0.0git (https://github.com/RadeonOpenCompute/llvm-project roc-6.4.0 25133 c7fe45cf4b819c5991fe208aaa96edf142730f1d)"
	.section	".note.GNU-stack","",@progbits
	.addrsig
	.addrsig_sym __hip_cuid_cfd5b110f240f110
	.amdgpu_metadata
---
amdhsa.kernels:
  - .agpr_count:     0
    .args:
      - .actual_access:  read_only
        .address_space:  global
        .offset:         0
        .size:           8
        .value_kind:     global_buffer
      - .offset:         8
        .size:           8
        .value_kind:     by_value
      - .actual_access:  read_only
        .address_space:  global
        .offset:         16
        .size:           8
        .value_kind:     global_buffer
      - .actual_access:  read_only
        .address_space:  global
        .offset:         24
        .size:           8
        .value_kind:     global_buffer
      - .actual_access:  read_only
        .address_space:  global
        .offset:         32
        .size:           8
        .value_kind:     global_buffer
      - .offset:         40
        .size:           8
        .value_kind:     by_value
      - .actual_access:  read_only
        .address_space:  global
        .offset:         48
        .size:           8
        .value_kind:     global_buffer
      - .actual_access:  read_only
        .address_space:  global
        .offset:         56
        .size:           8
        .value_kind:     global_buffer
      - .offset:         64
        .size:           4
        .value_kind:     by_value
      - .actual_access:  read_only
        .address_space:  global
        .offset:         72
        .size:           8
        .value_kind:     global_buffer
      - .actual_access:  read_only
        .address_space:  global
        .offset:         80
        .size:           8
        .value_kind:     global_buffer
      - .actual_access:  read_only
        .address_space:  global
        .offset:         88
        .size:           8
        .value_kind:     global_buffer
      - .actual_access:  write_only
        .address_space:  global
        .offset:         96
        .size:           8
        .value_kind:     global_buffer
    .group_segment_fixed_size: 0
    .kernarg_segment_align: 8
    .kernarg_segment_size: 104
    .language:       OpenCL C
    .language_version:
      - 2
      - 0
    .max_flat_workgroup_size: 175
    .name:           fft_rtc_fwd_len1750_factors_2_5_5_7_5_wgs_175_tpt_175_halfLds_sp_op_CI_CI_unitstride_sbrr_dirReg
    .private_segment_fixed_size: 0
    .sgpr_count:     34
    .sgpr_spill_count: 0
    .symbol:         fft_rtc_fwd_len1750_factors_2_5_5_7_5_wgs_175_tpt_175_halfLds_sp_op_CI_CI_unitstride_sbrr_dirReg.kd
    .uniform_work_group_size: 1
    .uses_dynamic_stack: false
    .vgpr_count:     68
    .vgpr_spill_count: 0
    .wavefront_size: 64
amdhsa.target:   amdgcn-amd-amdhsa--gfx950
amdhsa.version:
  - 1
  - 2
...

	.end_amdgpu_metadata
